;; amdgpu-corpus repo=zjin-lcf/HeCBench kind=compiled arch=gfx1100 opt=O3
	.text
	.amdgcn_target "amdgcn-amd-amdhsa--gfx1100"
	.amdhsa_code_object_version 6
	.section	.text._Z13surfel_renderIfEvPKT_iS0_iiPS0_,"axG",@progbits,_Z13surfel_renderIfEvPKT_iS0_iiPS0_,comdat
	.protected	_Z13surfel_renderIfEvPKT_iS0_iiPS0_ ; -- Begin function _Z13surfel_renderIfEvPKT_iS0_iiPS0_
	.globl	_Z13surfel_renderIfEvPKT_iS0_iiPS0_
	.p2align	8
	.type	_Z13surfel_renderIfEvPKT_iS0_iiPS0_,@function
_Z13surfel_renderIfEvPKT_iS0_iiPS0_:    ; @_Z13surfel_renderIfEvPKT_iS0_iiPS0_
; %bb.0:
	s_clause 0x1
	s_load_b32 s2, s[0:1], 0x2c
	s_load_b128 s[4:7], s[0:1], 0x8
	v_and_b32_e32 v2, 0x3ff, v0
	v_bfe_u32 v3, v0, 10, 10
	s_waitcnt lgkmcnt(0)
	s_lshr_b32 s3, s2, 16
	s_and_b32 s2, s2, 0xffff
	s_delay_alu instid0(VALU_DEP_1) | instid1(SALU_CYCLE_1)
	v_mad_u64_u32 v[0:1], null, s14, s2, v[2:3]
	v_mad_u64_u32 v[1:2], null, s15, s3, v[3:4]
	s_delay_alu instid0(VALU_DEP_2) | instskip(NEXT) | instid1(VALU_DEP_2)
	v_cmp_gt_i32_e32 vcc_lo, s6, v0
	v_cmp_gt_i32_e64 s2, s7, v1
	s_delay_alu instid0(VALU_DEP_1) | instskip(NEXT) | instid1(SALU_CYCLE_1)
	s_and_b32 s2, vcc_lo, s2
	s_and_saveexec_b32 s3, s2
	s_cbranch_execz .LBB0_6
; %bb.1:
	s_load_b64 s[2:3], s[0:1], 0x18
	s_cmp_lt_i32 s4, 1
	s_cbranch_scc1 .LBB0_4
; %bb.2:
	s_load_b64 s[0:1], s[0:1], 0x0
	s_add_i32 s8, s6, -1
	s_add_i32 s7, s7, -1
	v_cvt_f32_i32_e32 v3, v0
	v_cvt_f32_i32_e32 v2, s8
	;; [unrolled: 1-line block ×4, first 2 shown]
	s_delay_alu instid0(VALU_DEP_3) | instskip(NEXT) | instid1(VALU_DEP_2)
	v_dual_fmac_f32 v3, -0.5, v2 :: v_dual_mov_b32 v2, 0x60ad78ec
	v_fmac_f32_e32 v4, -0.5, v5
	s_waitcnt lgkmcnt(0)
	s_add_u32 s8, s0, 12
	s_addc_u32 s9, s1, 0
.LBB0_3:                                ; =>This Inner Loop Header: Depth=1
	s_add_u32 s0, s8, -12
	s_addc_u32 s1, s9, -1
	s_add_i32 s4, s4, -1
	s_clause 0x1
	s_load_b128 s[12:15], s[0:1], 0x0
	s_load_b64 s[0:1], s[8:9], 0x4
	s_waitcnt lgkmcnt(0)
	v_mul_f32_e64 v5, s13, s0
	v_mul_f32_e32 v6, s0, v4
	s_load_b32 s0, s[8:9], 0xc
	s_delay_alu instid0(VALU_DEP_2) | instskip(NEXT) | instid1(VALU_DEP_2)
	v_fmac_f32_e64 v5, s12, s15
	v_fmac_f32_e32 v6, s15, v3
	s_delay_alu instid0(VALU_DEP_2) | instskip(NEXT) | instid1(VALU_DEP_2)
	v_fmac_f32_e64 v5, s14, s1
	v_fmac_f32_e64 v6, s1, s5
	s_delay_alu instid0(VALU_DEP_1) | instskip(SKIP_1) | instid1(VALU_DEP_2)
	v_div_scale_f32 v7, null, v6, v6, v5
	v_div_scale_f32 v10, vcc_lo, v5, v6, v5
	v_rcp_f32_e32 v8, v7
	s_waitcnt_depctr 0xfff
	v_fma_f32 v9, -v7, v8, 1.0
	s_delay_alu instid0(VALU_DEP_1) | instskip(NEXT) | instid1(VALU_DEP_1)
	v_fmac_f32_e32 v8, v9, v8
	v_mul_f32_e32 v9, v10, v8
	s_delay_alu instid0(VALU_DEP_1) | instskip(NEXT) | instid1(VALU_DEP_1)
	v_fma_f32 v11, -v7, v9, v10
	v_fmac_f32_e32 v9, v11, v8
	s_delay_alu instid0(VALU_DEP_1) | instskip(NEXT) | instid1(VALU_DEP_1)
	v_fma_f32 v7, -v7, v9, v10
	v_div_fmas_f32 v7, v7, v8, v9
	s_delay_alu instid0(VALU_DEP_1) | instskip(NEXT) | instid1(VALU_DEP_1)
	v_div_fixup_f32 v5, v7, v6, v5
	v_fma_f32 v6, v4, v5, -s13
	v_fma_f32 v7, v3, v5, -s12
	s_delay_alu instid0(VALU_DEP_2) | instskip(NEXT) | instid1(VALU_DEP_1)
	v_dual_mul_f32 v5, s5, v5 :: v_dual_mul_f32 v6, v6, v6
	v_subrev_f32_e32 v8, s14, v5
	v_cmp_gt_f32_e32 vcc_lo, v2, v5
	s_delay_alu instid0(VALU_DEP_3) | instskip(NEXT) | instid1(VALU_DEP_1)
	v_fmac_f32_e32 v6, v7, v7
	v_fmac_f32_e32 v6, v8, v8
	s_waitcnt lgkmcnt(0)
	s_delay_alu instid0(VALU_DEP_1) | instskip(NEXT) | instid1(VALU_DEP_1)
	v_cmp_gt_f32_e64 s0, s0, v6
	s_and_b32 vcc_lo, s0, vcc_lo
	s_add_u32 s8, s8, 28
	v_cndmask_b32_e32 v2, v2, v5, vcc_lo
	s_addc_u32 s9, s9, 0
	s_cmp_eq_u32 s4, 0
	s_cbranch_scc0 .LBB0_3
	s_branch .LBB0_5
.LBB0_4:
	v_mov_b32_e32 v2, 0x60ad78ec
.LBB0_5:
	v_mad_u64_u32 v[3:4], null, v1, s6, v[0:1]
	s_delay_alu instid0(VALU_DEP_2) | instskip(SKIP_1) | instid1(VALU_DEP_3)
	v_cmp_nlt_f32_e32 vcc_lo, 0x42c80000, v2
	v_cndmask_b32_e32 v2, 0, v2, vcc_lo
	v_ashrrev_i32_e32 v4, 31, v3
	s_delay_alu instid0(VALU_DEP_1) | instskip(SKIP_1) | instid1(VALU_DEP_1)
	v_lshlrev_b64 v[0:1], 2, v[3:4]
	s_waitcnt lgkmcnt(0)
	v_add_co_u32 v0, vcc_lo, s2, v0
	s_delay_alu instid0(VALU_DEP_2)
	v_add_co_ci_u32_e32 v1, vcc_lo, s3, v1, vcc_lo
	global_store_b32 v[0:1], v2, off
.LBB0_6:
	s_nop 0
	s_sendmsg sendmsg(MSG_DEALLOC_VGPRS)
	s_endpgm
	.section	.rodata,"a",@progbits
	.p2align	6, 0x0
	.amdhsa_kernel _Z13surfel_renderIfEvPKT_iS0_iiPS0_
		.amdhsa_group_segment_fixed_size 0
		.amdhsa_private_segment_fixed_size 0
		.amdhsa_kernarg_size 288
		.amdhsa_user_sgpr_count 14
		.amdhsa_user_sgpr_dispatch_ptr 0
		.amdhsa_user_sgpr_queue_ptr 0
		.amdhsa_user_sgpr_kernarg_segment_ptr 1
		.amdhsa_user_sgpr_dispatch_id 0
		.amdhsa_user_sgpr_private_segment_size 0
		.amdhsa_wavefront_size32 1
		.amdhsa_uses_dynamic_stack 0
		.amdhsa_enable_private_segment 0
		.amdhsa_system_sgpr_workgroup_id_x 1
		.amdhsa_system_sgpr_workgroup_id_y 1
		.amdhsa_system_sgpr_workgroup_id_z 0
		.amdhsa_system_sgpr_workgroup_info 0
		.amdhsa_system_vgpr_workitem_id 1
		.amdhsa_next_free_vgpr 12
		.amdhsa_next_free_sgpr 16
		.amdhsa_reserve_vcc 1
		.amdhsa_float_round_mode_32 0
		.amdhsa_float_round_mode_16_64 0
		.amdhsa_float_denorm_mode_32 3
		.amdhsa_float_denorm_mode_16_64 3
		.amdhsa_dx10_clamp 1
		.amdhsa_ieee_mode 1
		.amdhsa_fp16_overflow 0
		.amdhsa_workgroup_processor_mode 1
		.amdhsa_memory_ordered 1
		.amdhsa_forward_progress 0
		.amdhsa_shared_vgpr_count 0
		.amdhsa_exception_fp_ieee_invalid_op 0
		.amdhsa_exception_fp_denorm_src 0
		.amdhsa_exception_fp_ieee_div_zero 0
		.amdhsa_exception_fp_ieee_overflow 0
		.amdhsa_exception_fp_ieee_underflow 0
		.amdhsa_exception_fp_ieee_inexact 0
		.amdhsa_exception_int_div_zero 0
	.end_amdhsa_kernel
	.section	.text._Z13surfel_renderIfEvPKT_iS0_iiPS0_,"axG",@progbits,_Z13surfel_renderIfEvPKT_iS0_iiPS0_,comdat
.Lfunc_end0:
	.size	_Z13surfel_renderIfEvPKT_iS0_iiPS0_, .Lfunc_end0-_Z13surfel_renderIfEvPKT_iS0_iiPS0_
                                        ; -- End function
	.section	.AMDGPU.csdata,"",@progbits
; Kernel info:
; codeLenInByte = 552
; NumSgprs: 18
; NumVgprs: 12
; ScratchSize: 0
; MemoryBound: 0
; FloatMode: 240
; IeeeMode: 1
; LDSByteSize: 0 bytes/workgroup (compile time only)
; SGPRBlocks: 2
; VGPRBlocks: 1
; NumSGPRsForWavesPerEU: 18
; NumVGPRsForWavesPerEU: 12
; Occupancy: 16
; WaveLimiterHint : 0
; COMPUTE_PGM_RSRC2:SCRATCH_EN: 0
; COMPUTE_PGM_RSRC2:USER_SGPR: 14
; COMPUTE_PGM_RSRC2:TRAP_HANDLER: 0
; COMPUTE_PGM_RSRC2:TGID_X_EN: 1
; COMPUTE_PGM_RSRC2:TGID_Y_EN: 1
; COMPUTE_PGM_RSRC2:TGID_Z_EN: 0
; COMPUTE_PGM_RSRC2:TIDIG_COMP_CNT: 1
	.section	.text._Z18surfel_render_tileIfLi256EEvPKT_iS0_iiPS0_,"axG",@progbits,_Z18surfel_render_tileIfLi256EEvPKT_iS0_iiPS0_,comdat
	.protected	_Z18surfel_render_tileIfLi256EEvPKT_iS0_iiPS0_ ; -- Begin function _Z18surfel_render_tileIfLi256EEvPKT_iS0_iiPS0_
	.globl	_Z18surfel_render_tileIfLi256EEvPKT_iS0_iiPS0_
	.p2align	8
	.type	_Z18surfel_render_tileIfLi256EEvPKT_iS0_iiPS0_,@function
_Z18surfel_render_tileIfLi256EEvPKT_iS0_iiPS0_: ; @_Z18surfel_render_tileIfLi256EEvPKT_iS0_iiPS0_
; %bb.0:
	s_clause 0x1
	s_load_b32 s2, s[0:1], 0x2c
	s_load_b128 s[4:7], s[0:1], 0x8
	v_and_b32_e32 v3, 0x3ff, v0
	v_bfe_u32 v4, v0, 10, 10
	s_waitcnt lgkmcnt(0)
	s_and_b32 s3, s2, 0xffff
	s_lshr_b32 s8, s2, 16
	s_delay_alu instid0(VALU_DEP_1) | instskip(SKIP_1) | instid1(VALU_DEP_2)
	v_mad_u64_u32 v[0:1], null, s14, s3, v[3:4]
	v_mad_u64_u32 v[1:2], null, s15, s8, v[4:5]
	v_cmp_gt_i32_e32 vcc_lo, s6, v0
	s_delay_alu instid0(VALU_DEP_2) | instskip(NEXT) | instid1(VALU_DEP_1)
	v_cmp_gt_i32_e64 s2, s7, v1
	s_and_b32 s2, vcc_lo, s2
	s_delay_alu instid0(SALU_CYCLE_1)
	s_and_saveexec_b32 s8, s2
	s_cbranch_execz .LBB1_15
; %bb.1:
	s_load_b64 s[8:9], s[0:1], 0x18
	s_cmp_lt_i32 s4, 1
	s_cbranch_scc1 .LBB1_13
; %bb.2:
	s_load_b64 s[10:11], s[0:1], 0x0
	s_add_i32 s0, s6, -1
	v_mad_u32_u24 v4, v4, s3, v3
	v_cvt_f32_i32_e32 v2, s0
	s_add_i32 s0, s7, -1
	v_cvt_f32_i32_e32 v5, v0
	v_cvt_f32_i32_e32 v6, v1
	;; [unrolled: 1-line block ×3, first 2 shown]
	v_mul_lo_u32 v8, v4, 28
	v_cmp_gt_u32_e64 s0, 0x100, v4
	v_fmac_f32_e32 v5, -0.5, v2
	s_delay_alu instid0(VALU_DEP_4)
	v_dual_mov_b32 v3, 0 :: v_dual_fmac_f32 v6, -0.5, v7
	v_mov_b32_e32 v7, 0x60ad78ec
	s_mov_b32 s3, 0
	s_mov_b32 s7, s4
	s_branch .LBB1_4
.LBB1_3:                                ;   in Loop: Header=BB1_4 Depth=1
	s_addk_i32 s3, 0x100
	s_addk_i32 s7, 0xff00
	s_cmp_ge_i32 s3, s4
	s_cbranch_scc1 .LBB1_14
.LBB1_4:                                ; =>This Loop Header: Depth=1
                                        ;     Child Loop BB1_9 Depth 2
	v_or_b32_e32 v2, s3, v4
	s_delay_alu instid0(VALU_DEP_1) | instskip(SKIP_1) | instid1(SALU_CYCLE_1)
	v_cmp_gt_i32_e32 vcc_lo, s4, v2
	s_and_b32 s2, s0, vcc_lo
	s_and_saveexec_b32 s1, s2
	s_cbranch_execz .LBB1_6
; %bb.5:                                ;   in Loop: Header=BB1_4 Depth=1
	v_mul_lo_u32 v2, v2, 7
	s_delay_alu instid0(VALU_DEP_1) | instskip(SKIP_1) | instid1(VALU_DEP_1)
	v_lshlrev_b64 v[9:10], 2, v[2:3]
	s_waitcnt lgkmcnt(0)
	v_add_co_u32 v13, vcc_lo, s10, v9
	s_delay_alu instid0(VALU_DEP_2)
	v_add_co_ci_u32_e32 v14, vcc_lo, s11, v10, vcc_lo
	s_clause 0x1
	global_load_b128 v[9:12], v[13:14], off
	global_load_b96 v[13:15], v[13:14], off offset:16
	s_waitcnt vmcnt(1)
	ds_store_2addr_b32 v8, v9, v10 offset1:1
	ds_store_2addr_b32 v8, v11, v12 offset0:2 offset1:3
	s_waitcnt vmcnt(0)
	ds_store_2addr_b32 v8, v13, v14 offset0:4 offset1:5
	ds_store_b32 v8, v15 offset:24
.LBB1_6:                                ;   in Loop: Header=BB1_4 Depth=1
	s_or_b32 exec_lo, exec_lo, s1
	s_cmp_ge_i32 s3, s4
	s_waitcnt lgkmcnt(0)
	s_barrier
	buffer_gl0_inv
	s_cbranch_scc1 .LBB1_3
; %bb.7:                                ;   in Loop: Header=BB1_4 Depth=1
	v_med3_i32 v9, s7, 1, 0x100
	s_cmp_lt_i32 s7, 2
	s_cbranch_scc1 .LBB1_11
; %bb.8:                                ;   in Loop: Header=BB1_4 Depth=1
	s_delay_alu instid0(VALU_DEP_1)
	v_and_b32_e32 v2, -2, v9
	s_mov_b32 s12, 0
	s_mov_b32 s13, 0
.LBB1_9:                                ;   Parent Loop BB1_4 Depth=1
                                        ; =>  This Inner Loop Header: Depth=2
	v_mov_b32_e32 v22, s12
	s_add_i32 s13, s13, 2
	s_add_i32 s12, s12, 56
	v_cmp_eq_u32_e64 s2, s13, v2
	ds_load_2addr_b64 v[10:13], v22 offset0:2 offset1:3
	ds_load_2addr_b64 v[14:17], v22 offset1:1
	ds_load_2addr_b64 v[18:21], v22 offset0:4 offset1:5
	ds_load_b64 v[22:23], v22 offset:48
	s_waitcnt lgkmcnt(1)
	v_mul_f32_e32 v25, v6, v21
	v_mul_f32_e32 v24, v6, v10
	v_dual_mul_f32 v10, v15, v10 :: v_dual_mul_f32 v21, v18, v21
	s_delay_alu instid0(VALU_DEP_3) | instskip(NEXT) | instid1(VALU_DEP_3)
	v_fmac_f32_e32 v25, v5, v20
	v_fmac_f32_e32 v24, v5, v17
	s_delay_alu instid0(VALU_DEP_3) | instskip(SKIP_1) | instid1(VALU_DEP_2)
	v_dual_fmac_f32 v10, v14, v17 :: v_dual_fmac_f32 v21, v13, v20
	s_waitcnt lgkmcnt(0)
	v_dual_fmac_f32 v25, s5, v22 :: v_dual_fmac_f32 v24, s5, v11
	s_delay_alu instid0(VALU_DEP_2) | instskip(NEXT) | instid1(VALU_DEP_1)
	v_dual_fmac_f32 v10, v16, v11 :: v_dual_fmac_f32 v21, v19, v22
	v_div_scale_f32 v11, null, v24, v24, v10
	s_delay_alu instid0(VALU_DEP_2) | instskip(SKIP_1) | instid1(VALU_DEP_3)
	v_div_scale_f32 v20, null, v25, v25, v21
	v_div_scale_f32 v17, vcc_lo, v10, v24, v10
	v_rcp_f32_e32 v26, v11
	s_delay_alu instid0(VALU_DEP_2) | instskip(SKIP_4) | instid1(VALU_DEP_1)
	v_rcp_f32_e32 v27, v20
	v_div_scale_f32 v22, s1, v21, v25, v21
	s_waitcnt_depctr 0xfff
	v_fma_f32 v28, -v11, v26, 1.0
	v_fma_f32 v29, -v20, v27, 1.0
	v_dual_fmac_f32 v26, v28, v26 :: v_dual_fmac_f32 v27, v29, v27
	s_delay_alu instid0(VALU_DEP_1) | instskip(NEXT) | instid1(VALU_DEP_1)
	v_dual_mul_f32 v28, v17, v26 :: v_dual_mul_f32 v29, v22, v27
	v_fma_f32 v30, -v11, v28, v17
	s_delay_alu instid0(VALU_DEP_2) | instskip(NEXT) | instid1(VALU_DEP_1)
	v_fma_f32 v31, -v20, v29, v22
	v_dual_fmac_f32 v28, v30, v26 :: v_dual_fmac_f32 v29, v31, v27
	s_delay_alu instid0(VALU_DEP_1) | instskip(NEXT) | instid1(VALU_DEP_2)
	v_fma_f32 v11, -v11, v28, v17
	v_fma_f32 v17, -v20, v29, v22
	s_delay_alu instid0(VALU_DEP_2) | instskip(SKIP_1) | instid1(VALU_DEP_2)
	v_div_fmas_f32 v11, v11, v26, v28
	s_mov_b32 vcc_lo, s1
	v_div_fmas_f32 v17, v17, v27, v29
	s_delay_alu instid0(VALU_DEP_2) | instskip(NEXT) | instid1(VALU_DEP_2)
	v_div_fixup_f32 v10, v11, v24, v10
	v_div_fixup_f32 v11, v17, v25, v21
	s_delay_alu instid0(VALU_DEP_2) | instskip(SKIP_2) | instid1(VALU_DEP_4)
	v_fma_f32 v15, v6, v10, -v15
	v_mul_f32_e32 v17, s5, v10
	v_fma_f32 v10, v5, v10, -v14
	v_mul_f32_e32 v14, s5, v11
	v_fma_f32 v13, v5, v11, -v13
	s_delay_alu instid0(VALU_DEP_4) | instskip(SKIP_2) | instid1(VALU_DEP_2)
	v_dual_mul_f32 v15, v15, v15 :: v_dual_sub_f32 v16, v17, v16
	v_fma_f32 v11, v6, v11, -v18
	v_cmp_lt_f32_e32 vcc_lo, v17, v7
	v_dual_fmac_f32 v15, v10, v10 :: v_dual_mul_f32 v10, v11, v11
	v_sub_f32_e32 v11, v14, v19
	s_delay_alu instid0(VALU_DEP_2) | instskip(NEXT) | instid1(VALU_DEP_1)
	v_dual_fmac_f32 v15, v16, v16 :: v_dual_fmac_f32 v10, v13, v13
	v_cmp_lt_f32_e64 s1, v15, v12
	s_delay_alu instid0(VALU_DEP_2) | instskip(NEXT) | instid1(VALU_DEP_2)
	v_fmac_f32_e32 v10, v11, v11
	s_and_b32 vcc_lo, s1, vcc_lo
	v_cndmask_b32_e32 v7, v7, v17, vcc_lo
	s_delay_alu instid0(VALU_DEP_2) | instskip(NEXT) | instid1(VALU_DEP_2)
	v_cmp_lt_f32_e32 vcc_lo, v10, v23
	v_cmp_lt_f32_e64 s1, v14, v7
	s_delay_alu instid0(VALU_DEP_1)
	s_and_b32 vcc_lo, vcc_lo, s1
	v_cndmask_b32_e32 v7, v7, v14, vcc_lo
	s_and_b32 vcc_lo, exec_lo, s2
	s_cbranch_vccz .LBB1_9
; %bb.10:                               ;   in Loop: Header=BB1_4 Depth=1
	v_and_b32_e32 v9, 1, v9
	s_delay_alu instid0(VALU_DEP_1)
	v_cmp_eq_u32_e32 vcc_lo, 0, v9
	s_cbranch_vccnz .LBB1_3
	s_branch .LBB1_12
.LBB1_11:                               ;   in Loop: Header=BB1_4 Depth=1
	s_delay_alu instid0(VALU_DEP_1) | instskip(NEXT) | instid1(VALU_DEP_1)
	v_dual_mov_b32 v2, 0 :: v_dual_and_b32 v9, 1, v9
	v_cmp_eq_u32_e32 vcc_lo, 0, v9
	s_cbranch_vccnz .LBB1_3
.LBB1_12:                               ;   in Loop: Header=BB1_4 Depth=1
	s_delay_alu instid0(VALU_DEP_2)
	v_mul_lo_u32 v2, v2, 28
	ds_load_2addr_b32 v[9:10], v2 offset0:4 offset1:5
	ds_load_2addr_b32 v[11:12], v2 offset1:1
	ds_load_2addr_b32 v[13:14], v2 offset0:2 offset1:3
	ds_load_b32 v2, v2 offset:24
	s_waitcnt lgkmcnt(3)
	v_mul_f32_e32 v15, v6, v9
	s_waitcnt lgkmcnt(2)
	v_mul_f32_e32 v9, v12, v9
	s_waitcnt lgkmcnt(1)
	s_delay_alu instid0(VALU_DEP_2) | instskip(NEXT) | instid1(VALU_DEP_2)
	v_fmac_f32_e32 v15, v5, v14
	v_fmac_f32_e32 v9, v11, v14
	s_delay_alu instid0(VALU_DEP_2) | instskip(NEXT) | instid1(VALU_DEP_2)
	v_fmac_f32_e32 v15, s5, v10
	v_fmac_f32_e32 v9, v13, v10
	s_delay_alu instid0(VALU_DEP_1) | instskip(SKIP_1) | instid1(VALU_DEP_2)
	v_div_scale_f32 v10, null, v15, v15, v9
	v_div_scale_f32 v17, vcc_lo, v9, v15, v9
	v_rcp_f32_e32 v14, v10
	s_waitcnt_depctr 0xfff
	v_fma_f32 v16, -v10, v14, 1.0
	s_delay_alu instid0(VALU_DEP_1) | instskip(NEXT) | instid1(VALU_DEP_1)
	v_fmac_f32_e32 v14, v16, v14
	v_mul_f32_e32 v16, v17, v14
	s_delay_alu instid0(VALU_DEP_1) | instskip(NEXT) | instid1(VALU_DEP_1)
	v_fma_f32 v18, -v10, v16, v17
	v_fmac_f32_e32 v16, v18, v14
	s_delay_alu instid0(VALU_DEP_1) | instskip(NEXT) | instid1(VALU_DEP_1)
	v_fma_f32 v10, -v10, v16, v17
	v_div_fmas_f32 v10, v10, v14, v16
	s_delay_alu instid0(VALU_DEP_1) | instskip(NEXT) | instid1(VALU_DEP_1)
	v_div_fixup_f32 v9, v10, v15, v9
	v_fma_f32 v10, v6, v9, -v12
	v_mul_f32_e32 v12, s5, v9
	v_fma_f32 v9, v5, v9, -v11
	s_delay_alu instid0(VALU_DEP_2) | instskip(SKIP_1) | instid1(VALU_DEP_2)
	v_dual_mul_f32 v10, v10, v10 :: v_dual_sub_f32 v11, v12, v13
	v_cmp_lt_f32_e32 vcc_lo, v12, v7
	v_fmac_f32_e32 v10, v9, v9
	s_delay_alu instid0(VALU_DEP_1) | instskip(SKIP_1) | instid1(VALU_DEP_1)
	v_fmac_f32_e32 v10, v11, v11
	s_waitcnt lgkmcnt(0)
	v_cmp_lt_f32_e64 s1, v10, v2
	s_delay_alu instid0(VALU_DEP_1)
	s_and_b32 vcc_lo, s1, vcc_lo
	v_cndmask_b32_e32 v7, v7, v12, vcc_lo
	s_branch .LBB1_3
.LBB1_13:
	v_mov_b32_e32 v7, 0x60ad78ec
.LBB1_14:
	v_mad_u64_u32 v[2:3], null, v1, s6, v[0:1]
	s_delay_alu instid0(VALU_DEP_2) | instskip(NEXT) | instid1(VALU_DEP_2)
	v_cmp_nlt_f32_e32 vcc_lo, 0x42c80000, v7
	v_ashrrev_i32_e32 v3, 31, v2
	s_delay_alu instid0(VALU_DEP_1) | instskip(SKIP_2) | instid1(VALU_DEP_2)
	v_lshlrev_b64 v[0:1], 2, v[2:3]
	v_cndmask_b32_e32 v2, 0, v7, vcc_lo
	s_waitcnt lgkmcnt(0)
	v_add_co_u32 v0, vcc_lo, s8, v0
	s_delay_alu instid0(VALU_DEP_3)
	v_add_co_ci_u32_e32 v1, vcc_lo, s9, v1, vcc_lo
	global_store_b32 v[0:1], v2, off
.LBB1_15:
	s_nop 0
	s_sendmsg sendmsg(MSG_DEALLOC_VGPRS)
	s_endpgm
	.section	.rodata,"a",@progbits
	.p2align	6, 0x0
	.amdhsa_kernel _Z18surfel_render_tileIfLi256EEvPKT_iS0_iiPS0_
		.amdhsa_group_segment_fixed_size 7168
		.amdhsa_private_segment_fixed_size 0
		.amdhsa_kernarg_size 288
		.amdhsa_user_sgpr_count 14
		.amdhsa_user_sgpr_dispatch_ptr 0
		.amdhsa_user_sgpr_queue_ptr 0
		.amdhsa_user_sgpr_kernarg_segment_ptr 1
		.amdhsa_user_sgpr_dispatch_id 0
		.amdhsa_user_sgpr_private_segment_size 0
		.amdhsa_wavefront_size32 1
		.amdhsa_uses_dynamic_stack 0
		.amdhsa_enable_private_segment 0
		.amdhsa_system_sgpr_workgroup_id_x 1
		.amdhsa_system_sgpr_workgroup_id_y 1
		.amdhsa_system_sgpr_workgroup_id_z 0
		.amdhsa_system_sgpr_workgroup_info 0
		.amdhsa_system_vgpr_workitem_id 1
		.amdhsa_next_free_vgpr 32
		.amdhsa_next_free_sgpr 16
		.amdhsa_reserve_vcc 1
		.amdhsa_float_round_mode_32 0
		.amdhsa_float_round_mode_16_64 0
		.amdhsa_float_denorm_mode_32 3
		.amdhsa_float_denorm_mode_16_64 3
		.amdhsa_dx10_clamp 1
		.amdhsa_ieee_mode 1
		.amdhsa_fp16_overflow 0
		.amdhsa_workgroup_processor_mode 1
		.amdhsa_memory_ordered 1
		.amdhsa_forward_progress 0
		.amdhsa_shared_vgpr_count 0
		.amdhsa_exception_fp_ieee_invalid_op 0
		.amdhsa_exception_fp_denorm_src 0
		.amdhsa_exception_fp_ieee_div_zero 0
		.amdhsa_exception_fp_ieee_overflow 0
		.amdhsa_exception_fp_ieee_underflow 0
		.amdhsa_exception_fp_ieee_inexact 0
		.amdhsa_exception_int_div_zero 0
	.end_amdhsa_kernel
	.section	.text._Z18surfel_render_tileIfLi256EEvPKT_iS0_iiPS0_,"axG",@progbits,_Z18surfel_render_tileIfLi256EEvPKT_iS0_iiPS0_,comdat
.Lfunc_end1:
	.size	_Z18surfel_render_tileIfLi256EEvPKT_iS0_iiPS0_, .Lfunc_end1-_Z18surfel_render_tileIfLi256EEvPKT_iS0_iiPS0_
                                        ; -- End function
	.section	.AMDGPU.csdata,"",@progbits
; Kernel info:
; codeLenInByte = 1252
; NumSgprs: 18
; NumVgprs: 32
; ScratchSize: 0
; MemoryBound: 0
; FloatMode: 240
; IeeeMode: 1
; LDSByteSize: 7168 bytes/workgroup (compile time only)
; SGPRBlocks: 2
; VGPRBlocks: 3
; NumSGPRsForWavesPerEU: 18
; NumVGPRsForWavesPerEU: 32
; Occupancy: 16
; WaveLimiterHint : 0
; COMPUTE_PGM_RSRC2:SCRATCH_EN: 0
; COMPUTE_PGM_RSRC2:USER_SGPR: 14
; COMPUTE_PGM_RSRC2:TRAP_HANDLER: 0
; COMPUTE_PGM_RSRC2:TGID_X_EN: 1
; COMPUTE_PGM_RSRC2:TGID_Y_EN: 1
; COMPUTE_PGM_RSRC2:TGID_Z_EN: 0
; COMPUTE_PGM_RSRC2:TIDIG_COMP_CNT: 1
	.text
	.p2alignl 7, 3214868480
	.fill 96, 4, 3214868480
	.type	__hip_cuid_2859bde3ac604db4,@object ; @__hip_cuid_2859bde3ac604db4
	.section	.bss,"aw",@nobits
	.globl	__hip_cuid_2859bde3ac604db4
__hip_cuid_2859bde3ac604db4:
	.byte	0                               ; 0x0
	.size	__hip_cuid_2859bde3ac604db4, 1

	.ident	"AMD clang version 19.0.0git (https://github.com/RadeonOpenCompute/llvm-project roc-6.4.0 25133 c7fe45cf4b819c5991fe208aaa96edf142730f1d)"
	.section	".note.GNU-stack","",@progbits
	.addrsig
	.addrsig_sym __hip_cuid_2859bde3ac604db4
	.amdgpu_metadata
---
amdhsa.kernels:
  - .args:
      - .actual_access:  read_only
        .address_space:  global
        .offset:         0
        .size:           8
        .value_kind:     global_buffer
      - .offset:         8
        .size:           4
        .value_kind:     by_value
      - .offset:         12
        .size:           4
        .value_kind:     by_value
      - .offset:         16
        .size:           4
        .value_kind:     by_value
      - .offset:         20
        .size:           4
        .value_kind:     by_value
      - .actual_access:  write_only
        .address_space:  global
        .offset:         24
        .size:           8
        .value_kind:     global_buffer
      - .offset:         32
        .size:           4
        .value_kind:     hidden_block_count_x
      - .offset:         36
        .size:           4
        .value_kind:     hidden_block_count_y
      - .offset:         40
        .size:           4
        .value_kind:     hidden_block_count_z
      - .offset:         44
        .size:           2
        .value_kind:     hidden_group_size_x
      - .offset:         46
        .size:           2
        .value_kind:     hidden_group_size_y
      - .offset:         48
        .size:           2
        .value_kind:     hidden_group_size_z
      - .offset:         50
        .size:           2
        .value_kind:     hidden_remainder_x
      - .offset:         52
        .size:           2
        .value_kind:     hidden_remainder_y
      - .offset:         54
        .size:           2
        .value_kind:     hidden_remainder_z
      - .offset:         72
        .size:           8
        .value_kind:     hidden_global_offset_x
      - .offset:         80
        .size:           8
        .value_kind:     hidden_global_offset_y
      - .offset:         88
        .size:           8
        .value_kind:     hidden_global_offset_z
      - .offset:         96
        .size:           2
        .value_kind:     hidden_grid_dims
    .group_segment_fixed_size: 0
    .kernarg_segment_align: 8
    .kernarg_segment_size: 288
    .language:       OpenCL C
    .language_version:
      - 2
      - 0
    .max_flat_workgroup_size: 1024
    .name:           _Z13surfel_renderIfEvPKT_iS0_iiPS0_
    .private_segment_fixed_size: 0
    .sgpr_count:     18
    .sgpr_spill_count: 0
    .symbol:         _Z13surfel_renderIfEvPKT_iS0_iiPS0_.kd
    .uniform_work_group_size: 1
    .uses_dynamic_stack: false
    .vgpr_count:     12
    .vgpr_spill_count: 0
    .wavefront_size: 32
    .workgroup_processor_mode: 1
  - .args:
      - .actual_access:  read_only
        .address_space:  global
        .offset:         0
        .size:           8
        .value_kind:     global_buffer
      - .offset:         8
        .size:           4
        .value_kind:     by_value
      - .offset:         12
        .size:           4
        .value_kind:     by_value
      - .offset:         16
        .size:           4
        .value_kind:     by_value
      - .offset:         20
        .size:           4
        .value_kind:     by_value
      - .actual_access:  write_only
        .address_space:  global
        .offset:         24
        .size:           8
        .value_kind:     global_buffer
      - .offset:         32
        .size:           4
        .value_kind:     hidden_block_count_x
      - .offset:         36
        .size:           4
        .value_kind:     hidden_block_count_y
      - .offset:         40
        .size:           4
        .value_kind:     hidden_block_count_z
      - .offset:         44
        .size:           2
        .value_kind:     hidden_group_size_x
      - .offset:         46
        .size:           2
        .value_kind:     hidden_group_size_y
      - .offset:         48
        .size:           2
        .value_kind:     hidden_group_size_z
      - .offset:         50
        .size:           2
        .value_kind:     hidden_remainder_x
      - .offset:         52
        .size:           2
        .value_kind:     hidden_remainder_y
      - .offset:         54
        .size:           2
        .value_kind:     hidden_remainder_z
      - .offset:         72
        .size:           8
        .value_kind:     hidden_global_offset_x
      - .offset:         80
        .size:           8
        .value_kind:     hidden_global_offset_y
      - .offset:         88
        .size:           8
        .value_kind:     hidden_global_offset_z
      - .offset:         96
        .size:           2
        .value_kind:     hidden_grid_dims
    .group_segment_fixed_size: 7168
    .kernarg_segment_align: 8
    .kernarg_segment_size: 288
    .language:       OpenCL C
    .language_version:
      - 2
      - 0
    .max_flat_workgroup_size: 1024
    .name:           _Z18surfel_render_tileIfLi256EEvPKT_iS0_iiPS0_
    .private_segment_fixed_size: 0
    .sgpr_count:     18
    .sgpr_spill_count: 0
    .symbol:         _Z18surfel_render_tileIfLi256EEvPKT_iS0_iiPS0_.kd
    .uniform_work_group_size: 1
    .uses_dynamic_stack: false
    .vgpr_count:     32
    .vgpr_spill_count: 0
    .wavefront_size: 32
    .workgroup_processor_mode: 1
amdhsa.target:   amdgcn-amd-amdhsa--gfx1100
amdhsa.version:
  - 1
  - 2
...

	.end_amdgpu_metadata
